;; amdgpu-corpus repo=ROCm/rocFFT kind=compiled arch=gfx906 opt=O3
	.text
	.amdgcn_target "amdgcn-amd-amdhsa--gfx906"
	.amdhsa_code_object_version 6
	.protected	fft_rtc_back_len1500_factors_5_10_10_3_wgs_150_tpt_150_halfLds_sp_ip_CI_unitstride_sbrr_C2R_dirReg ; -- Begin function fft_rtc_back_len1500_factors_5_10_10_3_wgs_150_tpt_150_halfLds_sp_ip_CI_unitstride_sbrr_C2R_dirReg
	.globl	fft_rtc_back_len1500_factors_5_10_10_3_wgs_150_tpt_150_halfLds_sp_ip_CI_unitstride_sbrr_C2R_dirReg
	.p2align	8
	.type	fft_rtc_back_len1500_factors_5_10_10_3_wgs_150_tpt_150_halfLds_sp_ip_CI_unitstride_sbrr_C2R_dirReg,@function
fft_rtc_back_len1500_factors_5_10_10_3_wgs_150_tpt_150_halfLds_sp_ip_CI_unitstride_sbrr_C2R_dirReg: ; @fft_rtc_back_len1500_factors_5_10_10_3_wgs_150_tpt_150_halfLds_sp_ip_CI_unitstride_sbrr_C2R_dirReg
; %bb.0:
	s_load_dwordx2 s[12:13], s[4:5], 0x50
	s_load_dwordx4 s[8:11], s[4:5], 0x0
	s_load_dwordx2 s[2:3], s[4:5], 0x18
	v_mul_u32_u24_e32 v1, 0x1b5, v0
	v_add_u32_sdwa v5, s6, v1 dst_sel:DWORD dst_unused:UNUSED_PAD src0_sel:DWORD src1_sel:WORD_1
	v_mov_b32_e32 v3, 0
	s_waitcnt lgkmcnt(0)
	v_cmp_lt_u64_e64 s[0:1], s[10:11], 2
	v_mov_b32_e32 v1, 0
	v_mov_b32_e32 v6, v3
	s_and_b64 vcc, exec, s[0:1]
	v_mov_b32_e32 v2, 0
	s_cbranch_vccnz .LBB0_8
; %bb.1:
	s_load_dwordx2 s[0:1], s[4:5], 0x10
	s_add_u32 s6, s2, 8
	s_addc_u32 s7, s3, 0
	v_mov_b32_e32 v1, 0
	v_mov_b32_e32 v2, 0
	s_waitcnt lgkmcnt(0)
	s_add_u32 s14, s0, 8
	s_addc_u32 s15, s1, 0
	s_mov_b64 s[16:17], 1
.LBB0_2:                                ; =>This Inner Loop Header: Depth=1
	s_load_dwordx2 s[18:19], s[14:15], 0x0
                                        ; implicit-def: $vgpr7_vgpr8
	s_waitcnt lgkmcnt(0)
	v_or_b32_e32 v4, s19, v6
	v_cmp_ne_u64_e32 vcc, 0, v[3:4]
	s_and_saveexec_b64 s[0:1], vcc
	s_xor_b64 s[20:21], exec, s[0:1]
	s_cbranch_execz .LBB0_4
; %bb.3:                                ;   in Loop: Header=BB0_2 Depth=1
	v_cvt_f32_u32_e32 v4, s18
	v_cvt_f32_u32_e32 v7, s19
	s_sub_u32 s0, 0, s18
	s_subb_u32 s1, 0, s19
	v_mac_f32_e32 v4, 0x4f800000, v7
	v_rcp_f32_e32 v4, v4
	v_mul_f32_e32 v4, 0x5f7ffffc, v4
	v_mul_f32_e32 v7, 0x2f800000, v4
	v_trunc_f32_e32 v7, v7
	v_mac_f32_e32 v4, 0xcf800000, v7
	v_cvt_u32_f32_e32 v7, v7
	v_cvt_u32_f32_e32 v4, v4
	v_mul_lo_u32 v8, s0, v7
	v_mul_hi_u32 v9, s0, v4
	v_mul_lo_u32 v11, s1, v4
	v_mul_lo_u32 v10, s0, v4
	v_add_u32_e32 v8, v9, v8
	v_add_u32_e32 v8, v8, v11
	v_mul_hi_u32 v9, v4, v10
	v_mul_lo_u32 v11, v4, v8
	v_mul_hi_u32 v13, v4, v8
	v_mul_hi_u32 v12, v7, v10
	v_mul_lo_u32 v10, v7, v10
	v_mul_hi_u32 v14, v7, v8
	v_add_co_u32_e32 v9, vcc, v9, v11
	v_addc_co_u32_e32 v11, vcc, 0, v13, vcc
	v_mul_lo_u32 v8, v7, v8
	v_add_co_u32_e32 v9, vcc, v9, v10
	v_addc_co_u32_e32 v9, vcc, v11, v12, vcc
	v_addc_co_u32_e32 v10, vcc, 0, v14, vcc
	v_add_co_u32_e32 v8, vcc, v9, v8
	v_addc_co_u32_e32 v9, vcc, 0, v10, vcc
	v_add_co_u32_e32 v4, vcc, v4, v8
	v_addc_co_u32_e32 v7, vcc, v7, v9, vcc
	v_mul_lo_u32 v8, s0, v7
	v_mul_hi_u32 v9, s0, v4
	v_mul_lo_u32 v10, s1, v4
	v_mul_lo_u32 v11, s0, v4
	v_add_u32_e32 v8, v9, v8
	v_add_u32_e32 v8, v8, v10
	v_mul_lo_u32 v12, v4, v8
	v_mul_hi_u32 v13, v4, v11
	v_mul_hi_u32 v14, v4, v8
	;; [unrolled: 1-line block ×3, first 2 shown]
	v_mul_lo_u32 v11, v7, v11
	v_mul_hi_u32 v9, v7, v8
	v_add_co_u32_e32 v12, vcc, v13, v12
	v_addc_co_u32_e32 v13, vcc, 0, v14, vcc
	v_mul_lo_u32 v8, v7, v8
	v_add_co_u32_e32 v11, vcc, v12, v11
	v_addc_co_u32_e32 v10, vcc, v13, v10, vcc
	v_addc_co_u32_e32 v9, vcc, 0, v9, vcc
	v_add_co_u32_e32 v8, vcc, v10, v8
	v_addc_co_u32_e32 v9, vcc, 0, v9, vcc
	v_add_co_u32_e32 v4, vcc, v4, v8
	v_addc_co_u32_e32 v9, vcc, v7, v9, vcc
	v_mad_u64_u32 v[7:8], s[0:1], v5, v9, 0
	v_mul_hi_u32 v10, v5, v4
	v_add_co_u32_e32 v11, vcc, v10, v7
	v_addc_co_u32_e32 v12, vcc, 0, v8, vcc
	v_mad_u64_u32 v[7:8], s[0:1], v6, v4, 0
	v_mad_u64_u32 v[9:10], s[0:1], v6, v9, 0
	v_add_co_u32_e32 v4, vcc, v11, v7
	v_addc_co_u32_e32 v4, vcc, v12, v8, vcc
	v_addc_co_u32_e32 v7, vcc, 0, v10, vcc
	v_add_co_u32_e32 v4, vcc, v4, v9
	v_addc_co_u32_e32 v9, vcc, 0, v7, vcc
	v_mul_lo_u32 v10, s19, v4
	v_mul_lo_u32 v11, s18, v9
	v_mad_u64_u32 v[7:8], s[0:1], s18, v4, 0
	v_add3_u32 v8, v8, v11, v10
	v_sub_u32_e32 v10, v6, v8
	v_mov_b32_e32 v11, s19
	v_sub_co_u32_e32 v7, vcc, v5, v7
	v_subb_co_u32_e64 v10, s[0:1], v10, v11, vcc
	v_subrev_co_u32_e64 v11, s[0:1], s18, v7
	v_subbrev_co_u32_e64 v10, s[0:1], 0, v10, s[0:1]
	v_cmp_le_u32_e64 s[0:1], s19, v10
	v_cndmask_b32_e64 v12, 0, -1, s[0:1]
	v_cmp_le_u32_e64 s[0:1], s18, v11
	v_cndmask_b32_e64 v11, 0, -1, s[0:1]
	v_cmp_eq_u32_e64 s[0:1], s19, v10
	v_cndmask_b32_e64 v10, v12, v11, s[0:1]
	v_add_co_u32_e64 v11, s[0:1], 2, v4
	v_addc_co_u32_e64 v12, s[0:1], 0, v9, s[0:1]
	v_add_co_u32_e64 v13, s[0:1], 1, v4
	v_addc_co_u32_e64 v14, s[0:1], 0, v9, s[0:1]
	v_subb_co_u32_e32 v8, vcc, v6, v8, vcc
	v_cmp_ne_u32_e64 s[0:1], 0, v10
	v_cmp_le_u32_e32 vcc, s19, v8
	v_cndmask_b32_e64 v10, v14, v12, s[0:1]
	v_cndmask_b32_e64 v12, 0, -1, vcc
	v_cmp_le_u32_e32 vcc, s18, v7
	v_cndmask_b32_e64 v7, 0, -1, vcc
	v_cmp_eq_u32_e32 vcc, s19, v8
	v_cndmask_b32_e32 v7, v12, v7, vcc
	v_cmp_ne_u32_e32 vcc, 0, v7
	v_cndmask_b32_e64 v7, v13, v11, s[0:1]
	v_cndmask_b32_e32 v8, v9, v10, vcc
	v_cndmask_b32_e32 v7, v4, v7, vcc
.LBB0_4:                                ;   in Loop: Header=BB0_2 Depth=1
	s_andn2_saveexec_b64 s[0:1], s[20:21]
	s_cbranch_execz .LBB0_6
; %bb.5:                                ;   in Loop: Header=BB0_2 Depth=1
	v_cvt_f32_u32_e32 v4, s18
	s_sub_i32 s20, 0, s18
	v_rcp_iflag_f32_e32 v4, v4
	v_mul_f32_e32 v4, 0x4f7ffffe, v4
	v_cvt_u32_f32_e32 v4, v4
	v_mul_lo_u32 v7, s20, v4
	v_mul_hi_u32 v7, v4, v7
	v_add_u32_e32 v4, v4, v7
	v_mul_hi_u32 v4, v5, v4
	v_mul_lo_u32 v7, v4, s18
	v_add_u32_e32 v8, 1, v4
	v_sub_u32_e32 v7, v5, v7
	v_subrev_u32_e32 v9, s18, v7
	v_cmp_le_u32_e32 vcc, s18, v7
	v_cndmask_b32_e32 v7, v7, v9, vcc
	v_cndmask_b32_e32 v4, v4, v8, vcc
	v_add_u32_e32 v8, 1, v4
	v_cmp_le_u32_e32 vcc, s18, v7
	v_cndmask_b32_e32 v7, v4, v8, vcc
	v_mov_b32_e32 v8, v3
.LBB0_6:                                ;   in Loop: Header=BB0_2 Depth=1
	s_or_b64 exec, exec, s[0:1]
	v_mul_lo_u32 v4, v8, s18
	v_mul_lo_u32 v11, v7, s19
	v_mad_u64_u32 v[9:10], s[0:1], v7, s18, 0
	s_load_dwordx2 s[0:1], s[6:7], 0x0
	s_add_u32 s16, s16, 1
	v_add3_u32 v4, v10, v11, v4
	v_sub_co_u32_e32 v5, vcc, v5, v9
	v_subb_co_u32_e32 v4, vcc, v6, v4, vcc
	s_waitcnt lgkmcnt(0)
	v_mul_lo_u32 v4, s0, v4
	v_mul_lo_u32 v6, s1, v5
	v_mad_u64_u32 v[1:2], s[0:1], s0, v5, v[1:2]
	s_addc_u32 s17, s17, 0
	s_add_u32 s6, s6, 8
	v_add3_u32 v2, v6, v2, v4
	v_mov_b32_e32 v4, s10
	v_mov_b32_e32 v5, s11
	s_addc_u32 s7, s7, 0
	v_cmp_ge_u64_e32 vcc, s[16:17], v[4:5]
	s_add_u32 s14, s14, 8
	s_addc_u32 s15, s15, 0
	s_cbranch_vccnz .LBB0_9
; %bb.7:                                ;   in Loop: Header=BB0_2 Depth=1
	v_mov_b32_e32 v5, v7
	v_mov_b32_e32 v6, v8
	s_branch .LBB0_2
.LBB0_8:
	v_mov_b32_e32 v8, v6
	v_mov_b32_e32 v7, v5
.LBB0_9:
	s_lshl_b64 s[0:1], s[10:11], 3
	s_add_u32 s0, s2, s0
	s_addc_u32 s1, s3, s1
	s_load_dwordx2 s[2:3], s[0:1], 0x0
	s_load_dwordx2 s[6:7], s[4:5], 0x20
	s_waitcnt lgkmcnt(0)
	v_mad_u64_u32 v[1:2], s[0:1], s2, v7, v[1:2]
	v_mul_lo_u32 v3, s2, v8
	v_mul_lo_u32 v4, s3, v7
	s_mov_b32 s0, 0x1b4e81c
	v_mul_hi_u32 v5, v0, s0
	v_cmp_gt_u64_e64 s[0:1], s[6:7], v[7:8]
	v_add3_u32 v2, v4, v2, v3
	v_lshlrev_b64 v[18:19], 3, v[1:2]
	v_mul_u32_u24_e32 v3, 0x96, v5
	v_sub_u32_e32 v16, v0, v3
	s_and_saveexec_b64 s[2:3], s[0:1]
	s_cbranch_execz .LBB0_13
; %bb.10:
	v_mov_b32_e32 v17, 0
	v_mov_b32_e32 v0, s13
	v_add_co_u32_e32 v1, vcc, s12, v18
	v_lshlrev_b64 v[2:3], 3, v[16:17]
	v_addc_co_u32_e32 v0, vcc, v0, v19, vcc
	v_add_co_u32_e32 v2, vcc, v1, v2
	v_addc_co_u32_e32 v3, vcc, v0, v3, vcc
	s_movk_i32 s4, 0x1000
	v_add_co_u32_e32 v6, vcc, s4, v2
	v_addc_co_u32_e32 v7, vcc, 0, v3, vcc
	v_add_co_u32_e32 v8, vcc, 0x2000, v2
	global_load_dwordx2 v[4:5], v[2:3], off offset:3600
	v_addc_co_u32_e32 v9, vcc, 0, v3, vcc
	global_load_dwordx2 v[10:11], v[2:3], off
	global_load_dwordx2 v[12:13], v[2:3], off offset:2400
	global_load_dwordx2 v[14:15], v[2:3], off offset:1200
	;; [unrolled: 1-line block ×8, first 2 shown]
	v_lshl_add_u32 v2, v16, 3, 0
	s_movk_i32 s4, 0x95
	v_add_u32_e32 v3, 0x800, v2
	v_cmp_eq_u32_e32 vcc, s4, v16
	v_add_u32_e32 v6, 0x1000, v2
	v_add_u32_e32 v7, 0x1c00, v2
	;; [unrolled: 1-line block ×3, first 2 shown]
	s_waitcnt vmcnt(7)
	ds_write2_b64 v3, v[12:13], v[4:5] offset0:44 offset1:194
	s_waitcnt vmcnt(6)
	ds_write2_b64 v2, v[10:11], v[14:15] offset1:150
	s_waitcnt vmcnt(4)
	ds_write2_b64 v6, v[20:21], v[22:23] offset0:88 offset1:238
	s_waitcnt vmcnt(2)
	ds_write2_b64 v7, v[24:25], v[26:27] offset0:4 offset1:154
	;; [unrolled: 2-line block ×3, first 2 shown]
	s_and_saveexec_b64 s[4:5], vcc
	s_cbranch_execz .LBB0_12
; %bb.11:
	v_add_co_u32_e32 v1, vcc, 0x2000, v1
	v_addc_co_u32_e32 v2, vcc, 0, v0, vcc
	global_load_dwordx2 v[0:1], v[1:2], off offset:3808
	v_mov_b32_e32 v16, 0x95
	s_waitcnt vmcnt(0)
	ds_write_b64 v17, v[0:1] offset:12000
.LBB0_12:
	s_or_b64 exec, exec, s[4:5]
.LBB0_13:
	s_or_b64 exec, exec, s[2:3]
	v_lshlrev_b32_e32 v0, 3, v16
	v_add_u32_e32 v30, 0, v0
	s_waitcnt lgkmcnt(0)
	s_barrier
	v_sub_u32_e32 v4, 0, v0
	ds_read_b32 v5, v30
	ds_read_b32 v6, v4 offset:12000
	s_add_u32 s4, s8, 0x2eb8
	s_addc_u32 s5, s9, 0
	v_cmp_ne_u32_e32 vcc, 0, v16
                                        ; implicit-def: $vgpr2_vgpr3
	s_waitcnt lgkmcnt(0)
	v_add_f32_e32 v0, v6, v5
	v_sub_f32_e32 v1, v5, v6
	s_and_saveexec_b64 s[2:3], vcc
	s_xor_b64 s[2:3], exec, s[2:3]
	s_cbranch_execz .LBB0_15
; %bb.14:
	v_mov_b32_e32 v17, 0
	v_lshlrev_b64 v[0:1], 3, v[16:17]
	v_mov_b32_e32 v2, s5
	v_add_co_u32_e32 v0, vcc, s4, v0
	v_addc_co_u32_e32 v1, vcc, v2, v1, vcc
	global_load_dwordx2 v[2:3], v[0:1], off
	ds_read_b32 v0, v4 offset:12004
	ds_read_b32 v1, v30 offset:4
	v_add_f32_e32 v7, v6, v5
	v_sub_f32_e32 v8, v5, v6
	s_waitcnt lgkmcnt(0)
	v_add_f32_e32 v9, v0, v1
	v_sub_f32_e32 v0, v1, v0
	s_waitcnt vmcnt(0)
	v_fma_f32 v10, v8, v3, v7
	v_fma_f32 v1, v9, v3, v0
	v_fma_f32 v5, -v8, v3, v7
	v_fma_f32 v6, v9, v3, -v0
	v_fma_f32 v0, -v2, v9, v10
	v_fmac_f32_e32 v1, v8, v2
	v_fmac_f32_e32 v5, v2, v9
	;; [unrolled: 1-line block ×3, first 2 shown]
	v_mov_b32_e32 v2, v16
	ds_write_b64 v4, v[5:6] offset:12000
	v_mov_b32_e32 v3, v17
.LBB0_15:
	s_andn2_saveexec_b64 s[2:3], s[2:3]
	s_cbranch_execz .LBB0_17
; %bb.16:
	v_mov_b32_e32 v7, 0
	ds_read_b64 v[2:3], v7 offset:6000
	s_waitcnt lgkmcnt(0)
	v_add_f32_e32 v5, v2, v2
	v_mul_f32_e32 v6, -2.0, v3
	v_mov_b32_e32 v2, 0
	v_mov_b32_e32 v3, 0
	ds_write_b64 v7, v[5:6] offset:6000
.LBB0_17:
	s_or_b64 exec, exec, s[2:3]
	v_lshlrev_b64 v[2:3], 3, v[2:3]
	v_mov_b32_e32 v5, s5
	v_add_co_u32_e32 v2, vcc, s4, v2
	v_addc_co_u32_e32 v3, vcc, v5, v3, vcc
	global_load_dwordx2 v[5:6], v[2:3], off offset:1200
	global_load_dwordx2 v[7:8], v[2:3], off offset:2400
	;; [unrolled: 1-line block ×3, first 2 shown]
	s_movk_i32 s2, 0x1000
	v_add_co_u32_e32 v2, vcc, s2, v2
	v_addc_co_u32_e32 v3, vcc, 0, v3, vcc
	global_load_dwordx2 v[2:3], v[2:3], off offset:704
	ds_write_b64 v30, v[0:1]
	ds_read_b64 v[0:1], v30 offset:1200
	ds_read_b64 v[11:12], v4 offset:10800
	v_add_u32_e32 v31, 0x1c00, v30
	s_movk_i32 s2, 0xcd
	v_cmp_gt_u32_e32 vcc, 50, v16
	s_waitcnt lgkmcnt(0)
	v_add_f32_e32 v13, v0, v11
	v_add_f32_e32 v14, v12, v1
	v_sub_f32_e32 v15, v0, v11
	v_sub_f32_e32 v0, v1, v12
	s_waitcnt vmcnt(3)
	v_fma_f32 v17, v15, v6, v13
	v_fma_f32 v1, v14, v6, v0
	v_fma_f32 v11, -v15, v6, v13
	v_fma_f32 v12, v14, v6, -v0
	v_fma_f32 v0, -v5, v14, v17
	v_fmac_f32_e32 v1, v15, v5
	v_fmac_f32_e32 v11, v5, v14
	;; [unrolled: 1-line block ×3, first 2 shown]
	ds_write_b64 v30, v[0:1] offset:1200
	ds_write_b64 v4, v[11:12] offset:10800
	ds_read_b64 v[0:1], v30 offset:2400
	ds_read_b64 v[5:6], v4 offset:9600
	v_add_u32_e32 v17, 0x800, v30
	s_waitcnt lgkmcnt(0)
	v_add_f32_e32 v11, v0, v5
	v_add_f32_e32 v12, v6, v1
	v_sub_f32_e32 v13, v0, v5
	v_sub_f32_e32 v0, v1, v6
	s_waitcnt vmcnt(2)
	v_fma_f32 v14, v13, v8, v11
	v_fma_f32 v1, v12, v8, v0
	v_fma_f32 v5, -v13, v8, v11
	v_fma_f32 v6, v12, v8, -v0
	v_fma_f32 v0, -v7, v12, v14
	v_fmac_f32_e32 v1, v13, v7
	v_fmac_f32_e32 v5, v7, v12
	;; [unrolled: 1-line block ×3, first 2 shown]
	ds_write_b64 v30, v[0:1] offset:2400
	ds_write_b64 v4, v[5:6] offset:9600
	ds_read_b64 v[0:1], v30 offset:3600
	ds_read_b64 v[5:6], v4 offset:8400
	s_waitcnt lgkmcnt(0)
	v_add_f32_e32 v7, v0, v5
	v_add_f32_e32 v8, v6, v1
	v_sub_f32_e32 v11, v0, v5
	v_sub_f32_e32 v0, v1, v6
	s_waitcnt vmcnt(1)
	v_fma_f32 v12, v11, v10, v7
	v_fma_f32 v1, v8, v10, v0
	v_fma_f32 v5, -v11, v10, v7
	v_fma_f32 v6, v8, v10, -v0
	v_fma_f32 v0, -v9, v8, v12
	v_fmac_f32_e32 v1, v11, v9
	v_fmac_f32_e32 v5, v9, v8
	v_fmac_f32_e32 v6, v11, v9
	ds_write_b64 v30, v[0:1] offset:3600
	ds_write_b64 v4, v[5:6] offset:8400
	ds_read_b64 v[5:6], v30 offset:4800
	ds_read_b64 v[7:8], v4 offset:7200
	v_add_u32_e32 v0, 0x1000, v30
	s_waitcnt lgkmcnt(0)
	v_add_f32_e32 v1, v5, v7
	v_add_f32_e32 v9, v8, v6
	v_sub_f32_e32 v10, v5, v7
	v_sub_f32_e32 v5, v6, v8
	s_waitcnt vmcnt(0)
	v_fma_f32 v11, v10, v3, v1
	v_fma_f32 v6, v9, v3, v5
	v_fma_f32 v7, -v10, v3, v1
	v_fma_f32 v8, v9, v3, -v5
	v_fma_f32 v5, -v2, v9, v11
	v_fmac_f32_e32 v6, v10, v2
	v_fmac_f32_e32 v7, v2, v9
	;; [unrolled: 1-line block ×3, first 2 shown]
	ds_write_b64 v30, v[5:6] offset:4800
	ds_write_b64 v4, v[7:8] offset:7200
	s_waitcnt lgkmcnt(0)
	s_barrier
	s_barrier
	ds_read2_b64 v[2:5], v30 offset1:150
	ds_read2_b64 v[6:9], v17 offset0:44 offset1:194
	v_add_u32_e32 v1, 0x2400, v30
	ds_read2_b64 v[10:13], v0 offset0:88 offset1:238
	ds_read2_b64 v[20:23], v31 offset0:4 offset1:154
	;; [unrolled: 1-line block ×3, first 2 shown]
	s_waitcnt lgkmcnt(0)
	s_barrier
	v_add_f32_e32 v14, v2, v6
	v_add_f32_e32 v15, v3, v7
	;; [unrolled: 1-line block ×4, first 2 shown]
	v_sub_f32_e32 v34, v6, v10
	v_sub_f32_e32 v35, v10, v6
	v_sub_f32_e32 v37, v10, v20
	v_add_f32_e32 v10, v14, v10
	v_add_f32_e32 v29, v5, v9
	v_sub_f32_e32 v33, v11, v21
	v_add_f32_e32 v36, v11, v21
	v_sub_f32_e32 v38, v7, v11
	v_sub_f32_e32 v39, v11, v7
	v_add_f32_e32 v40, v12, v22
	v_sub_f32_e32 v42, v8, v12
	;; [unrolled: 3-line block ×3, first 2 shown]
	v_add_f32_e32 v11, v15, v11
	v_add_f32_e32 v12, v28, v12
	;; [unrolled: 1-line block ×3, first 2 shown]
	v_sub_f32_e32 v28, v6, v24
	v_add_f32_e32 v6, v10, v20
	v_sub_f32_e32 v10, v26, v22
	v_sub_f32_e32 v41, v13, v23
	;; [unrolled: 1-line block ×4, first 2 shown]
	v_add_f32_e32 v13, v29, v13
	v_sub_f32_e32 v14, v7, v25
	v_add_f32_e32 v29, v7, v25
	v_add_f32_e32 v49, v8, v26
	v_sub_f32_e32 v50, v8, v26
	v_add_f32_e32 v7, v11, v21
	v_add_f32_e32 v8, v12, v22
	v_sub_f32_e32 v52, v24, v20
	v_sub_f32_e32 v20, v20, v24
	;; [unrolled: 1-line block ×3, first 2 shown]
	v_add_f32_e32 v6, v6, v24
	v_add_f32_e32 v24, v42, v10
	v_fma_f32 v10, -0.5, v40, v4
	v_fma_f32 v11, -0.5, v44, v5
	v_sub_f32_e32 v48, v9, v27
	v_add_f32_e32 v51, v9, v27
	v_add_f32_e32 v9, v13, v23
	v_sub_f32_e32 v53, v25, v21
	v_sub_f32_e32 v21, v21, v25
	v_add_f32_e32 v7, v7, v25
	v_add_f32_e32 v25, v46, v12
	v_mov_b32_e32 v12, v10
	v_mov_b32_e32 v13, v11
	v_fmac_f32_e32 v12, 0xbf737871, v48
	v_fmac_f32_e32 v13, 0x3f737871, v50
	v_sub_f32_e32 v22, v22, v26
	v_add_f32_e32 v8, v8, v26
	v_fmac_f32_e32 v12, 0xbf167918, v41
	v_fmac_f32_e32 v13, 0x3f167918, v45
	v_lshl_add_u32 v26, v16, 5, v30
	v_sub_f32_e32 v23, v23, v27
	v_add_f32_e32 v9, v9, v27
	v_fmac_f32_e32 v12, 0x3e9e377a, v24
	v_fmac_f32_e32 v13, 0x3e9e377a, v25
	v_add_u32_e32 v27, 0x1770, v26
	ds_write2_b64 v27, v[8:9], v[12:13] offset1:1
	v_fma_f32 v8, -0.5, v32, v2
	v_fma_f32 v9, -0.5, v36, v3
	v_mov_b32_e32 v12, v8
	v_mov_b32_e32 v13, v9
	v_fmac_f32_e32 v12, 0xbf737871, v14
	v_fmac_f32_e32 v13, 0x3f737871, v28
	v_add_f32_e32 v27, v34, v52
	v_add_f32_e32 v32, v38, v53
	v_fmac_f32_e32 v12, 0xbf167918, v33
	v_fmac_f32_e32 v13, 0x3f167918, v37
	;; [unrolled: 1-line block ×4, first 2 shown]
	v_fma_f32 v2, -0.5, v15, v2
	ds_write2_b64 v26, v[6:7], v[12:13] offset1:1
	v_mov_b32_e32 v6, v2
	v_fmac_f32_e32 v6, 0x3f737871, v33
	v_fmac_f32_e32 v2, 0xbf737871, v33
	v_add_f32_e32 v7, v35, v20
	v_fmac_f32_e32 v6, 0xbf167918, v14
	v_fmac_f32_e32 v2, 0x3f167918, v14
	v_fma_f32 v3, -0.5, v29, v3
	v_fmac_f32_e32 v6, 0x3e9e377a, v7
	v_fmac_f32_e32 v2, 0x3e9e377a, v7
	v_mov_b32_e32 v7, v3
	v_fmac_f32_e32 v7, 0xbf737871, v37
	v_fmac_f32_e32 v3, 0x3f737871, v37
	v_add_f32_e32 v12, v39, v21
	v_fmac_f32_e32 v7, 0x3f167918, v28
	v_fmac_f32_e32 v3, 0xbf167918, v28
	;; [unrolled: 1-line block ×4, first 2 shown]
	v_fma_f32 v4, -0.5, v49, v4
	ds_write2_b64 v26, v[6:7], v[2:3] offset0:2 offset1:3
	v_mov_b32_e32 v2, v4
	v_fmac_f32_e32 v2, 0x3f737871, v41
	v_fmac_f32_e32 v4, 0xbf737871, v41
	v_add_f32_e32 v3, v43, v22
	v_fmac_f32_e32 v2, 0xbf167918, v48
	v_fmac_f32_e32 v4, 0x3f167918, v48
	v_fmac_f32_e32 v5, -0.5, v51
	v_fmac_f32_e32 v2, 0x3e9e377a, v3
	v_fmac_f32_e32 v4, 0x3e9e377a, v3
	v_mov_b32_e32 v3, v5
	v_fmac_f32_e32 v8, 0x3f737871, v14
	v_fmac_f32_e32 v9, 0xbf737871, v28
	v_fmac_f32_e32 v3, 0xbf737871, v45
	v_fmac_f32_e32 v5, 0x3f737871, v45
	v_fmac_f32_e32 v8, 0x3f167918, v33
	v_fmac_f32_e32 v9, 0xbf167918, v37
	v_fmac_f32_e32 v10, 0x3f737871, v48
	v_fmac_f32_e32 v11, 0xbf737871, v50
	v_add_f32_e32 v6, v47, v23
	v_fmac_f32_e32 v3, 0x3f167918, v50
	v_fmac_f32_e32 v5, 0xbf167918, v50
	;; [unrolled: 1-line block ×8, first 2 shown]
	v_add_u32_e32 v6, 0x1780, v26
	v_fmac_f32_e32 v10, 0x3e9e377a, v24
	v_fmac_f32_e32 v11, 0x3e9e377a, v25
	ds_write_b64 v26, v[8:9] offset:32
	ds_write2_b64 v6, v[2:3], v[4:5] offset1:1
	ds_write_b64 v26, v[10:11] offset:6032
	v_mul_lo_u16_sdwa v2, v16, s2 dst_sel:DWORD dst_unused:UNUSED_PAD src0_sel:BYTE_0 src1_sel:DWORD
	v_lshrrev_b16_e32 v15, 10, v2
	v_mul_lo_u16_e32 v2, 5, v15
	v_sub_u16_e32 v32, v16, v2
	v_mov_b32_e32 v2, 9
	v_mul_u32_u24_sdwa v3, v32, v2 dst_sel:DWORD dst_unused:UNUSED_PAD src0_sel:BYTE_0 src1_sel:DWORD
	v_lshlrev_b32_e32 v24, 3, v3
	s_waitcnt lgkmcnt(0)
	s_barrier
	global_load_dwordx2 v[28:29], v24, s[8:9] offset:64
	global_load_dwordx4 v[3:6], v24, s[8:9] offset:48
	global_load_dwordx4 v[7:10], v24, s[8:9] offset:32
	global_load_dwordx4 v[11:14], v24, s[8:9] offset:16
	global_load_dwordx4 v[20:23], v24, s[8:9]
	ds_read2_b64 v[24:27], v1 offset0:48 offset1:198
	s_waitcnt vmcnt(4) lgkmcnt(0)
	v_mul_f32_e32 v33, v27, v29
	v_fmac_f32_e32 v33, v26, v28
	v_mul_f32_e32 v26, v26, v29
	v_fma_f32 v34, v27, v28, -v26
	ds_read2_b64 v[26:29], v31 offset0:4 offset1:154
	s_waitcnt vmcnt(3)
	v_mul_f32_e32 v35, v25, v6
	v_mul_f32_e32 v6, v24, v6
	v_fmac_f32_e32 v35, v24, v5
	v_fma_f32 v24, v25, v5, -v6
	s_waitcnt lgkmcnt(0)
	v_mul_f32_e32 v25, v29, v4
	v_mul_f32_e32 v4, v28, v4
	v_fmac_f32_e32 v25, v28, v3
	v_fma_f32 v28, v29, v3, -v4
	ds_read2_b64 v[3:6], v0 offset0:88 offset1:238
	s_waitcnt vmcnt(2)
	v_mul_f32_e32 v29, v27, v10
	v_mul_f32_e32 v10, v26, v10
	v_fmac_f32_e32 v29, v26, v9
	v_fma_f32 v26, v27, v9, -v10
	s_waitcnt lgkmcnt(0)
	v_mul_f32_e32 v27, v8, v6
	v_fmac_f32_e32 v27, v7, v5
	v_mul_f32_e32 v5, v8, v5
	v_fma_f32 v36, v7, v6, -v5
	ds_read2_b64 v[5:8], v17 offset0:44 offset1:194
	s_waitcnt vmcnt(1)
	v_mul_f32_e32 v37, v14, v4
	v_fmac_f32_e32 v37, v13, v3
	v_mul_f32_e32 v3, v14, v3
	v_fma_f32 v13, v13, v4, -v3
	s_waitcnt lgkmcnt(0)
	v_mul_f32_e32 v14, v12, v8
	v_mul_f32_e32 v3, v12, v7
	v_fmac_f32_e32 v14, v11, v7
	v_fma_f32 v11, v11, v8, -v3
	ds_read2_b64 v[7:10], v30 offset1:150
	s_waitcnt vmcnt(0)
	v_mul_f32_e32 v12, v23, v6
	v_mul_f32_e32 v3, v23, v5
	v_fmac_f32_e32 v12, v22, v5
	v_fma_f32 v22, v22, v6, -v3
	s_waitcnt lgkmcnt(0)
	v_mul_f32_e32 v23, v21, v10
	v_mul_f32_e32 v3, v21, v9
	v_fmac_f32_e32 v23, v20, v9
	v_fma_f32 v9, v20, v10, -v3
	v_add_f32_e32 v3, v37, v29
	v_fma_f32 v10, -0.5, v3, v7
	v_add_f32_e32 v3, v12, v35
	v_fma_f32 v20, -0.5, v3, v7
	v_add_f32_e32 v3, v13, v26
	v_fma_f32 v21, -0.5, v3, v8
	v_add_f32_e32 v3, v22, v24
	v_fma_f32 v38, -0.5, v3, v8
	v_sub_f32_e32 v3, v12, v37
	v_sub_f32_e32 v6, v35, v29
	v_add_f32_e32 v5, v8, v22
	v_add_f32_e32 v8, v3, v6
	v_sub_f32_e32 v3, v22, v13
	v_sub_f32_e32 v6, v24, v26
	v_add_f32_e32 v39, v3, v6
	v_sub_f32_e32 v3, v14, v27
	v_sub_f32_e32 v6, v33, v25
	;; [unrolled: 3-line block ×3, first 2 shown]
	v_add_f32_e32 v41, v3, v6
	v_add_f32_e32 v6, v36, v28
	v_add_f32_e32 v3, v27, v25
	v_fma_f32 v45, -0.5, v6, v9
	v_fma_f32 v42, -0.5, v3, v23
	v_sub_f32_e32 v46, v14, v33
	v_mov_b32_e32 v6, v45
	v_sub_f32_e32 v43, v11, v34
	v_mov_b32_e32 v3, v42
	v_fmac_f32_e32 v6, 0x3f737871, v46
	v_sub_f32_e32 v47, v27, v25
	v_fmac_f32_e32 v3, 0xbf737871, v43
	v_sub_f32_e32 v44, v36, v28
	v_fmac_f32_e32 v6, 0x3f167918, v47
	v_add_f32_e32 v4, v7, v12
	v_fmac_f32_e32 v3, 0xbf167918, v44
	v_fmac_f32_e32 v6, 0x3e9e377a, v41
	;; [unrolled: 1-line block ×3, first 2 shown]
	v_mul_f32_e32 v48, 0xbf167918, v6
	v_mul_f32_e32 v49, 0x3f4f1bbd, v6
	v_add_f32_e32 v4, v4, v37
	v_fmac_f32_e32 v48, 0x3f4f1bbd, v3
	v_fmac_f32_e32 v49, 0x3f167918, v3
	v_mov_b32_e32 v3, 3
	v_add_f32_e32 v4, v4, v29
	v_lshlrev_b32_sdwa v7, v3, v32 dst_sel:DWORD dst_unused:UNUSED_PAD src0_sel:DWORD src1_sel:BYTE_0
	v_add_f32_e32 v32, v4, v35
	v_add_f32_e32 v4, v5, v13
	;; [unrolled: 1-line block ×7, first 2 shown]
	v_sub_f32_e32 v50, v22, v24
	v_mov_b32_e32 v51, v10
	v_sub_f32_e32 v54, v12, v35
	v_mov_b32_e32 v55, v21
	v_add_f32_e32 v57, v4, v33
	v_add_f32_e32 v4, v9, v11
	v_fmac_f32_e32 v51, 0xbf737871, v50
	v_sub_f32_e32 v52, v13, v26
	v_fmac_f32_e32 v55, 0x3f737871, v54
	v_sub_f32_e32 v56, v37, v29
	v_add_f32_e32 v4, v4, v36
	v_fmac_f32_e32 v51, 0xbf167918, v52
	v_fmac_f32_e32 v55, 0x3f167918, v56
	v_add_f32_e32 v4, v4, v28
	v_mul_u32_u24_e32 v6, 0x190, v15
	v_fmac_f32_e32 v51, 0x3e9e377a, v8
	v_fmac_f32_e32 v55, 0x3e9e377a, v39
	v_add_f32_e32 v58, v4, v34
	v_add3_u32 v15, 0, v6, v7
	v_add_f32_e32 v4, v32, v57
	v_add_f32_e32 v5, v53, v58
	;; [unrolled: 1-line block ×4, first 2 shown]
	s_barrier
	ds_write2_b64 v15, v[4:5], v[6:7] offset1:5
	v_sub_f32_e32 v4, v37, v12
	v_mov_b32_e32 v12, v20
	v_sub_f32_e32 v5, v29, v35
	v_fmac_f32_e32 v12, 0x3f737871, v52
	v_fmac_f32_e32 v20, 0xbf737871, v52
	v_add_f32_e32 v4, v4, v5
	v_fmac_f32_e32 v12, 0xbf167918, v50
	v_fmac_f32_e32 v20, 0x3f167918, v50
	;; [unrolled: 1-line block ×4, first 2 shown]
	v_sub_f32_e32 v4, v13, v22
	v_mov_b32_e32 v13, v38
	v_sub_f32_e32 v5, v26, v24
	v_fmac_f32_e32 v13, 0xbf737871, v56
	v_fmac_f32_e32 v38, 0x3f737871, v56
	v_add_f32_e32 v4, v4, v5
	v_fmac_f32_e32 v13, 0x3f167918, v54
	v_fmac_f32_e32 v38, 0xbf167918, v54
	;; [unrolled: 1-line block ×4, first 2 shown]
	v_add_f32_e32 v4, v14, v33
	v_fmac_f32_e32 v23, -0.5, v4
	v_sub_f32_e32 v4, v27, v14
	v_sub_f32_e32 v5, v25, v33
	v_add_f32_e32 v4, v4, v5
	v_mov_b32_e32 v5, v23
	v_fmac_f32_e32 v5, 0x3f737871, v44
	v_fmac_f32_e32 v23, 0xbf737871, v44
	;; [unrolled: 1-line block ×6, first 2 shown]
	v_add_f32_e32 v4, v11, v34
	v_fmac_f32_e32 v9, -0.5, v4
	v_sub_f32_e32 v4, v36, v11
	v_sub_f32_e32 v6, v28, v34
	v_add_f32_e32 v4, v4, v6
	v_mov_b32_e32 v6, v9
	v_fmac_f32_e32 v6, 0xbf737871, v47
	v_fmac_f32_e32 v9, 0x3f737871, v47
	;; [unrolled: 1-line block ×9, first 2 shown]
	v_mul_f32_e32 v11, 0xbf737871, v6
	v_mul_f32_e32 v14, 0x3e9e377a, v6
	v_mul_f32_e32 v22, 0xbf737871, v9
	v_mul_f32_e32 v9, 0xbe9e377a, v9
	v_fmac_f32_e32 v10, 0x3f737871, v50
	v_fmac_f32_e32 v21, 0xbf737871, v54
	;; [unrolled: 1-line block ×11, first 2 shown]
	v_mul_f32_e32 v23, 0xbf167918, v45
	v_mul_f32_e32 v24, 0xbf4f1bbd, v45
	v_add_f32_e32 v4, v12, v11
	v_add_f32_e32 v5, v13, v14
	;; [unrolled: 1-line block ×4, first 2 shown]
	v_fmac_f32_e32 v10, 0x3e9e377a, v8
	v_fmac_f32_e32 v21, 0x3e9e377a, v39
	;; [unrolled: 1-line block ×4, first 2 shown]
	ds_write2_b64 v15, v[4:5], v[6:7] offset0:10 offset1:15
	v_sub_f32_e32 v4, v32, v57
	v_sub_f32_e32 v5, v53, v58
	v_add_f32_e32 v6, v10, v23
	v_add_f32_e32 v7, v21, v24
	ds_write2_b64 v15, v[6:7], v[4:5] offset0:20 offset1:25
	v_sub_f32_e32 v4, v51, v48
	v_sub_f32_e32 v5, v55, v49
	v_sub_f32_e32 v6, v12, v11
	v_sub_f32_e32 v7, v13, v14
	v_sub_f32_e32 v8, v20, v22
	v_sub_f32_e32 v9, v38, v9
	v_sub_f32_e32 v10, v10, v23
	v_sub_f32_e32 v11, v21, v24
	ds_write2_b64 v15, v[4:5], v[6:7] offset0:30 offset1:35
	ds_write2_b64 v15, v[8:9], v[10:11] offset0:40 offset1:45
	v_mov_b32_e32 v4, 41
	v_mul_lo_u16_sdwa v4, v16, v4 dst_sel:DWORD dst_unused:UNUSED_PAD src0_sel:BYTE_0 src1_sel:DWORD
	v_lshrrev_b16_e32 v32, 11, v4
	v_mul_lo_u16_e32 v4, 50, v32
	v_sub_u16_e32 v33, v16, v4
	v_mul_u32_u24_sdwa v2, v33, v2 dst_sel:DWORD dst_unused:UNUSED_PAD src0_sel:BYTE_0 src1_sel:DWORD
	v_lshlrev_b32_e32 v2, 3, v2
	s_waitcnt lgkmcnt(0)
	s_barrier
	global_load_dwordx2 v[28:29], v2, s[8:9] offset:424
	global_load_dwordx4 v[4:7], v2, s[8:9] offset:408
	global_load_dwordx4 v[8:11], v2, s[8:9] offset:392
	;; [unrolled: 1-line block ×4, first 2 shown]
	ds_read2_b64 v[24:27], v1 offset0:48 offset1:198
	s_waitcnt vmcnt(4) lgkmcnt(0)
	v_mul_f32_e32 v34, v27, v29
	v_mul_f32_e32 v1, v26, v29
	v_fmac_f32_e32 v34, v26, v28
	v_fma_f32 v35, v27, v28, -v1
	ds_read2_b64 v[26:29], v31 offset0:4 offset1:154
	s_waitcnt vmcnt(3)
	v_mul_f32_e32 v36, v25, v7
	v_mul_f32_e32 v1, v24, v7
	v_fmac_f32_e32 v36, v24, v6
	v_fma_f32 v24, v25, v6, -v1
	s_waitcnt lgkmcnt(0)
	v_mul_f32_e32 v25, v29, v5
	v_mul_f32_e32 v1, v28, v5
	v_fmac_f32_e32 v25, v28, v4
	v_fma_f32 v28, v29, v4, -v1
	ds_read2_b64 v[4:7], v0 offset0:88 offset1:238
	s_waitcnt vmcnt(2)
	v_mul_f32_e32 v29, v27, v11
	v_mul_f32_e32 v0, v26, v11
	v_fmac_f32_e32 v29, v26, v10
	v_fma_f32 v26, v27, v10, -v0
	s_waitcnt lgkmcnt(0)
	;; [unrolled: 11-line block ×3, first 2 shown]
	v_mul_f32_e32 v5, v13, v9
	v_mul_f32_e32 v0, v13, v8
	v_fmac_f32_e32 v5, v12, v8
	v_fma_f32 v12, v12, v9, -v0
	ds_read2_b64 v[8:11], v30 offset1:150
	s_waitcnt vmcnt(0)
	v_mul_f32_e32 v13, v23, v7
	v_mul_f32_e32 v0, v23, v6
	v_fmac_f32_e32 v13, v22, v6
	v_fma_f32 v6, v22, v7, -v0
	s_waitcnt lgkmcnt(0)
	v_mul_f32_e32 v7, v21, v11
	v_mul_f32_e32 v0, v21, v10
	v_fmac_f32_e32 v7, v20, v10
	v_fma_f32 v10, v20, v11, -v0
	v_add_f32_e32 v0, v38, v29
	v_fma_f32 v11, -0.5, v0, v8
	v_add_f32_e32 v0, v13, v36
	v_fma_f32 v14, -0.5, v0, v8
	;; [unrolled: 2-line block ×4, first 2 shown]
	v_add_f32_e32 v0, v8, v13
	v_sub_f32_e32 v2, v13, v38
	v_sub_f32_e32 v8, v36, v29
	v_add_f32_e32 v1, v9, v6
	v_add_f32_e32 v8, v2, v8
	v_sub_f32_e32 v2, v6, v4
	v_sub_f32_e32 v9, v24, v26
	v_add_f32_e32 v9, v2, v9
	v_sub_f32_e32 v2, v5, v27
	v_sub_f32_e32 v21, v34, v25
	;; [unrolled: 3-line block ×3, first 2 shown]
	v_add_f32_e32 v41, v37, v28
	v_add_f32_e32 v22, v2, v22
	;; [unrolled: 1-line block ×3, first 2 shown]
	v_fma_f32 v41, -0.5, v41, v10
	v_fma_f32 v23, -0.5, v2, v7
	v_sub_f32_e32 v42, v5, v34
	v_mov_b32_e32 v43, v41
	v_sub_f32_e32 v39, v12, v35
	v_mov_b32_e32 v2, v23
	v_fmac_f32_e32 v43, 0x3f737871, v42
	v_sub_f32_e32 v44, v27, v25
	v_fmac_f32_e32 v2, 0xbf737871, v39
	v_sub_f32_e32 v40, v37, v28
	v_fmac_f32_e32 v43, 0x3f167918, v44
	v_fmac_f32_e32 v2, 0xbf167918, v40
	;; [unrolled: 1-line block ×3, first 2 shown]
	v_add_f32_e32 v0, v0, v38
	v_fmac_f32_e32 v2, 0x3e9e377a, v21
	v_mul_f32_e32 v45, 0xbf167918, v43
	v_mul_f32_e32 v43, 0x3f4f1bbd, v43
	v_add_f32_e32 v0, v0, v29
	v_fmac_f32_e32 v45, 0x3f4f1bbd, v2
	v_fmac_f32_e32 v43, 0x3f167918, v2
	v_lshlrev_b32_sdwa v2, v3, v33 dst_sel:DWORD dst_unused:UNUSED_PAD src0_sel:DWORD src1_sel:BYTE_0
	v_add_f32_e32 v33, v0, v36
	v_add_f32_e32 v0, v1, v4
	;; [unrolled: 1-line block ×7, first 2 shown]
	v_sub_f32_e32 v46, v6, v24
	v_mov_b32_e32 v47, v11
	v_sub_f32_e32 v50, v13, v36
	v_mov_b32_e32 v51, v15
	v_add_f32_e32 v53, v0, v34
	v_add_f32_e32 v0, v10, v12
	v_fmac_f32_e32 v47, 0xbf737871, v46
	v_sub_f32_e32 v48, v4, v26
	v_fmac_f32_e32 v51, 0x3f737871, v50
	v_sub_f32_e32 v52, v38, v29
	v_add_f32_e32 v0, v0, v37
	v_fmac_f32_e32 v47, 0xbf167918, v48
	v_fmac_f32_e32 v51, 0x3f167918, v52
	v_add_f32_e32 v0, v0, v28
	v_mul_u32_u24_e32 v3, 0xfa0, v32
	v_fmac_f32_e32 v47, 0x3e9e377a, v8
	v_fmac_f32_e32 v51, 0x3e9e377a, v9
	v_add_f32_e32 v54, v0, v35
	v_add3_u32 v32, 0, v3, v2
	v_add_f32_e32 v0, v33, v53
	v_add_f32_e32 v1, v49, v54
	;; [unrolled: 1-line block ×4, first 2 shown]
	s_barrier
	ds_write2_b64 v32, v[0:1], v[2:3] offset1:50
	v_sub_f32_e32 v0, v38, v13
	v_mov_b32_e32 v13, v14
	v_sub_f32_e32 v1, v29, v36
	v_fmac_f32_e32 v13, 0x3f737871, v48
	v_fmac_f32_e32 v14, 0xbf737871, v48
	v_add_f32_e32 v0, v0, v1
	v_fmac_f32_e32 v13, 0xbf167918, v46
	v_fmac_f32_e32 v14, 0x3f167918, v46
	;; [unrolled: 1-line block ×4, first 2 shown]
	v_sub_f32_e32 v0, v4, v6
	v_mov_b32_e32 v6, v20
	v_sub_f32_e32 v1, v26, v24
	v_fmac_f32_e32 v6, 0xbf737871, v52
	v_fmac_f32_e32 v20, 0x3f737871, v52
	v_add_f32_e32 v0, v0, v1
	v_fmac_f32_e32 v6, 0x3f167918, v50
	v_fmac_f32_e32 v20, 0xbf167918, v50
	;; [unrolled: 1-line block ×4, first 2 shown]
	v_add_f32_e32 v0, v5, v34
	v_fmac_f32_e32 v7, -0.5, v0
	v_sub_f32_e32 v0, v27, v5
	v_sub_f32_e32 v1, v25, v34
	v_add_f32_e32 v0, v0, v1
	v_mov_b32_e32 v1, v7
	v_fmac_f32_e32 v1, 0x3f737871, v40
	v_fmac_f32_e32 v7, 0xbf737871, v40
	;; [unrolled: 1-line block ×6, first 2 shown]
	v_add_f32_e32 v0, v12, v35
	v_fmac_f32_e32 v10, -0.5, v0
	v_sub_f32_e32 v0, v37, v12
	v_sub_f32_e32 v2, v28, v35
	v_add_f32_e32 v0, v0, v2
	v_mov_b32_e32 v2, v10
	v_fmac_f32_e32 v2, 0xbf737871, v44
	v_fmac_f32_e32 v2, 0x3f167918, v42
	;; [unrolled: 1-line block ×7, first 2 shown]
	v_mul_f32_e32 v4, 0xbf737871, v2
	v_fmac_f32_e32 v23, 0x3f737871, v39
	v_fmac_f32_e32 v41, 0xbf167918, v44
	;; [unrolled: 1-line block ×3, first 2 shown]
	v_mul_f32_e32 v5, 0x3e9e377a, v2
	v_mul_f32_e32 v12, 0xbf737871, v10
	;; [unrolled: 1-line block ×3, first 2 shown]
	v_fmac_f32_e32 v11, 0x3f737871, v46
	v_fmac_f32_e32 v15, 0xbf737871, v50
	;; [unrolled: 1-line block ×7, first 2 shown]
	v_add_f32_e32 v0, v13, v4
	v_sub_f32_e32 v4, v13, v4
	v_fmac_f32_e32 v11, 0x3f167918, v48
	v_fmac_f32_e32 v15, 0xbf167918, v52
	;; [unrolled: 1-line block ×3, first 2 shown]
	v_mul_f32_e32 v13, 0xbf167918, v41
	v_mul_f32_e32 v21, 0xbf4f1bbd, v41
	v_add_f32_e32 v1, v6, v5
	v_add_f32_e32 v2, v14, v12
	;; [unrolled: 1-line block ×3, first 2 shown]
	v_fmac_f32_e32 v11, 0x3e9e377a, v8
	v_fmac_f32_e32 v15, 0x3e9e377a, v9
	;; [unrolled: 1-line block ×4, first 2 shown]
	ds_write2_b64 v32, v[0:1], v[2:3] offset0:100 offset1:150
	v_sub_f32_e32 v0, v33, v53
	v_sub_f32_e32 v1, v49, v54
	v_add_f32_e32 v8, v11, v13
	v_add_f32_e32 v9, v15, v21
	v_sub_f32_e32 v2, v47, v45
	v_sub_f32_e32 v3, v51, v43
	;; [unrolled: 1-line block ×5, first 2 shown]
	ds_write2_b64 v32, v[8:9], v[0:1] offset0:200 offset1:250
	v_add_u32_e32 v0, 0x800, v32
	v_sub_f32_e32 v20, v11, v13
	v_sub_f32_e32 v21, v15, v21
	ds_write2_b64 v0, v[2:3], v[4:5] offset0:44 offset1:94
	ds_write2_b64 v0, v[6:7], v[20:21] offset0:144 offset1:194
	s_waitcnt lgkmcnt(0)
	s_barrier
	ds_read2_b64 v[4:7], v30 offset1:150
	ds_read2_b64 v[0:3], v17 offset0:44 offset1:244
	v_add_u32_e32 v32, 0x1400, v30
	ds_read_b64 v[28:29], v30 offset:10400
	ds_read2_b64 v[12:15], v31 offset0:104 offset1:254
	ds_read2_b64 v[8:11], v32 offset0:10 offset1:160
                                        ; implicit-def: $vgpr23
                                        ; implicit-def: $vgpr25
	s_and_saveexec_b64 s[2:3], vcc
	s_cbranch_execz .LBB0_19
; %bb.18:
	ds_read_b64 v[20:21], v30 offset:3600
	ds_read_b64 v[24:25], v30 offset:7600
	ds_read_b64 v[22:23], v30 offset:11600
.LBB0_19:
	s_or_b64 exec, exec, s[2:3]
	v_lshlrev_b32_e32 v26, 1, v16
	v_mov_b32_e32 v27, 0
	v_lshlrev_b64 v[33:34], 3, v[26:27]
	v_add_u32_e32 v37, 0x12c, v26
	v_mov_b32_e32 v38, v27
	v_mov_b32_e32 v43, s9
	v_add_co_u32_e64 v33, s[2:3], s8, v33
	v_lshlrev_b64 v[37:38], 3, v[37:38]
	v_addc_co_u32_e64 v34, s[2:3], v43, v34, s[2:3]
	v_add_u32_e32 v26, 0x258, v26
	v_add_co_u32_e64 v37, s[2:3], s8, v37
	v_lshlrev_b64 v[41:42], 3, v[26:27]
	v_addc_co_u32_e64 v38, s[2:3], v43, v38, s[2:3]
	v_add_co_u32_e64 v41, s[2:3], s8, v41
	global_load_dwordx4 v[33:36], v[33:34], off offset:3960
	v_addc_co_u32_e64 v42, s[2:3], v43, v42, s[2:3]
	global_load_dwordx4 v[37:40], v[37:38], off offset:3960
	s_waitcnt vmcnt(1) lgkmcnt(3)
	v_mul_f32_e32 v26, v34, v3
	global_load_dwordx4 v[41:44], v[41:42], off offset:3960
	v_mul_f32_e32 v34, v34, v2
	s_waitcnt lgkmcnt(1)
	v_mul_f32_e32 v45, v36, v13
	v_mul_f32_e32 v36, v36, v12
	v_fmac_f32_e32 v26, v33, v2
	v_fma_f32 v2, v33, v3, -v34
	v_fmac_f32_e32 v45, v35, v12
	v_fma_f32 v3, v35, v13, -v36
	s_waitcnt vmcnt(1) lgkmcnt(0)
	v_mul_f32_e32 v12, v38, v9
	v_mul_f32_e32 v13, v38, v8
	;; [unrolled: 1-line block ×4, first 2 shown]
	v_fmac_f32_e32 v12, v37, v8
	v_fma_f32 v8, v37, v9, -v13
	v_fmac_f32_e32 v33, v39, v14
	v_fma_f32 v13, v39, v15, -v34
	v_sub_f32_e32 v15, v2, v3
	v_add_f32_e32 v34, v8, v13
	s_waitcnt vmcnt(0)
	s_barrier
	v_mul_f32_e32 v36, v42, v10
	v_mul_f32_e32 v35, v42, v11
	;; [unrolled: 1-line block ×4, first 2 shown]
	v_fma_f32 v9, v41, v11, -v36
	v_add_f32_e32 v11, v26, v45
	v_fmac_f32_e32 v35, v41, v10
	v_fmac_f32_e32 v38, v43, v28
	v_fma_f32 v14, v43, v29, -v40
	v_add_f32_e32 v10, v4, v26
	v_add_f32_e32 v28, v5, v2
	;; [unrolled: 1-line block ×3, first 2 shown]
	v_fma_f32 v4, -0.5, v11, v4
	v_add_f32_e32 v11, v12, v33
	v_add_f32_e32 v2, v10, v45
	;; [unrolled: 1-line block ×3, first 2 shown]
	v_fma_f32 v5, -0.5, v29, v5
	v_add_f32_e32 v10, v6, v12
	v_add_f32_e32 v28, v7, v8
	;; [unrolled: 1-line block ×5, first 2 shown]
	v_fma_f32 v6, -0.5, v11, v6
	v_sub_f32_e32 v26, v26, v45
	v_sub_f32_e32 v29, v8, v13
	;; [unrolled: 1-line block ×3, first 2 shown]
	v_add_f32_e32 v12, v0, v35
	v_sub_f32_e32 v39, v9, v14
	v_mov_b32_e32 v8, v4
	v_mov_b32_e32 v9, v5
	v_add_f32_e32 v11, v28, v13
	v_fmac_f32_e32 v7, -0.5, v34
	v_fma_f32 v0, -0.5, v37, v0
	v_add_f32_e32 v13, v40, v14
	v_mov_b32_e32 v14, v6
	v_fmac_f32_e32 v1, -0.5, v41
	v_fmac_f32_e32 v4, 0x3f5db3d7, v15
	v_fmac_f32_e32 v5, 0xbf5db3d7, v26
	v_add_f32_e32 v10, v10, v33
	v_fmac_f32_e32 v8, 0xbf5db3d7, v15
	v_fmac_f32_e32 v9, 0x3f5db3d7, v26
	;; [unrolled: 1-line block ×3, first 2 shown]
	v_mov_b32_e32 v15, v7
	v_mov_b32_e32 v28, v0
	v_fmac_f32_e32 v14, 0xbf5db3d7, v29
	v_sub_f32_e32 v26, v35, v38
	v_mov_b32_e32 v29, v1
	v_add_f32_e32 v12, v12, v38
	v_fmac_f32_e32 v7, 0xbf5db3d7, v36
	v_fmac_f32_e32 v0, 0x3f5db3d7, v39
	;; [unrolled: 1-line block ×6, first 2 shown]
	ds_write2_b64 v30, v[2:3], v[10:11] offset1:150
	ds_write2_b64 v31, v[4:5], v[6:7] offset0:104 offset1:254
	ds_write2_b64 v17, v[12:13], v[8:9] offset0:44 offset1:244
	;; [unrolled: 1-line block ×3, first 2 shown]
	ds_write_b64 v30, v[0:1] offset:10400
	s_and_saveexec_b64 s[2:3], vcc
	s_cbranch_execz .LBB0_21
; %bb.20:
	v_not_b32_e32 v0, 49
	v_mov_b32_e32 v1, 0x1c2
	v_cndmask_b32_e32 v0, v0, v1, vcc
	v_add_lshl_u32 v26, v16, v0, 1
	v_lshlrev_b64 v[0:1], 3, v[26:27]
	v_mov_b32_e32 v2, s9
	v_add_co_u32_e32 v0, vcc, s8, v0
	v_addc_co_u32_e32 v1, vcc, v2, v1, vcc
	global_load_dwordx4 v[0:3], v[0:1], off offset:3960
	s_waitcnt vmcnt(0)
	v_mul_f32_e32 v4, v24, v1
	v_mul_f32_e32 v5, v22, v3
	v_mul_f32_e32 v1, v25, v1
	v_mul_f32_e32 v6, v23, v3
	v_fma_f32 v3, v25, v0, -v4
	v_fma_f32 v4, v23, v2, -v5
	v_fmac_f32_e32 v1, v24, v0
	v_fmac_f32_e32 v6, v22, v2
	v_add_f32_e32 v0, v3, v4
	v_add_f32_e32 v5, v1, v6
	v_sub_f32_e32 v7, v1, v6
	v_add_f32_e32 v2, v21, v3
	v_sub_f32_e32 v8, v3, v4
	v_add_f32_e32 v9, v20, v1
	v_fma_f32 v1, -0.5, v0, v21
	v_fma_f32 v0, -0.5, v5, v20
	v_add_f32_e32 v3, v2, v4
	v_add_f32_e32 v2, v9, v6
	v_mov_b32_e32 v5, v1
	v_fmac_f32_e32 v1, 0x3f5db3d7, v7
	v_mov_b32_e32 v4, v0
	v_fmac_f32_e32 v0, 0xbf5db3d7, v8
	ds_write_b64 v30, v[2:3] offset:3600
	v_fmac_f32_e32 v5, 0xbf5db3d7, v7
	v_fmac_f32_e32 v4, 0x3f5db3d7, v8
	ds_write_b64 v30, v[0:1] offset:7600
	ds_write_b64 v30, v[4:5] offset:11600
.LBB0_21:
	s_or_b64 exec, exec, s[2:3]
	s_waitcnt lgkmcnt(0)
	s_barrier
	s_and_saveexec_b64 s[2:3], s[0:1]
	s_cbranch_execz .LBB0_23
; %bb.22:
	v_lshl_add_u32 v6, v16, 3, 0
	v_mov_b32_e32 v17, 0
	ds_read2_b64 v[0:3], v6 offset1:150
	v_mov_b32_e32 v4, s13
	v_add_co_u32_e32 v7, vcc, s12, v18
	v_addc_co_u32_e32 v8, vcc, v4, v19, vcc
	v_lshlrev_b64 v[4:5], 3, v[16:17]
	v_add_co_u32_e32 v4, vcc, v7, v4
	v_addc_co_u32_e32 v5, vcc, v8, v5, vcc
	s_waitcnt lgkmcnt(0)
	global_store_dwordx2 v[4:5], v[0:1], off
	v_add_u32_e32 v0, 0x96, v16
	v_mov_b32_e32 v1, v17
	v_lshlrev_b64 v[0:1], 3, v[0:1]
	v_add_u32_e32 v4, 0x12c, v16
	v_add_co_u32_e32 v0, vcc, v7, v0
	v_addc_co_u32_e32 v1, vcc, v8, v1, vcc
	global_store_dwordx2 v[0:1], v[2:3], off
	v_add_u32_e32 v0, 0x800, v6
	v_mov_b32_e32 v5, v17
	ds_read2_b64 v[0:3], v0 offset0:44 offset1:194
	v_lshlrev_b64 v[4:5], 3, v[4:5]
	v_add_co_u32_e32 v4, vcc, v7, v4
	v_addc_co_u32_e32 v5, vcc, v8, v5, vcc
	s_waitcnt lgkmcnt(0)
	global_store_dwordx2 v[4:5], v[0:1], off
	v_add_u32_e32 v0, 0x1c2, v16
	v_mov_b32_e32 v1, v17
	v_lshlrev_b64 v[0:1], 3, v[0:1]
	v_add_u32_e32 v4, 0x258, v16
	v_add_co_u32_e32 v0, vcc, v7, v0
	v_addc_co_u32_e32 v1, vcc, v8, v1, vcc
	global_store_dwordx2 v[0:1], v[2:3], off
	v_add_u32_e32 v0, 0x1000, v6
	v_mov_b32_e32 v5, v17
	ds_read2_b64 v[0:3], v0 offset0:88 offset1:238
	;; [unrolled: 15-line block ×4, first 2 shown]
	v_lshlrev_b64 v[4:5], 3, v[4:5]
	v_add_u32_e32 v16, 0x546, v16
	v_add_co_u32_e32 v4, vcc, v7, v4
	v_addc_co_u32_e32 v5, vcc, v8, v5, vcc
	s_waitcnt lgkmcnt(0)
	global_store_dwordx2 v[4:5], v[0:1], off
	v_lshlrev_b64 v[0:1], 3, v[16:17]
	v_add_co_u32_e32 v0, vcc, v7, v0
	v_addc_co_u32_e32 v1, vcc, v8, v1, vcc
	global_store_dwordx2 v[0:1], v[2:3], off
.LBB0_23:
	s_endpgm
	.section	.rodata,"a",@progbits
	.p2align	6, 0x0
	.amdhsa_kernel fft_rtc_back_len1500_factors_5_10_10_3_wgs_150_tpt_150_halfLds_sp_ip_CI_unitstride_sbrr_C2R_dirReg
		.amdhsa_group_segment_fixed_size 0
		.amdhsa_private_segment_fixed_size 0
		.amdhsa_kernarg_size 88
		.amdhsa_user_sgpr_count 6
		.amdhsa_user_sgpr_private_segment_buffer 1
		.amdhsa_user_sgpr_dispatch_ptr 0
		.amdhsa_user_sgpr_queue_ptr 0
		.amdhsa_user_sgpr_kernarg_segment_ptr 1
		.amdhsa_user_sgpr_dispatch_id 0
		.amdhsa_user_sgpr_flat_scratch_init 0
		.amdhsa_user_sgpr_private_segment_size 0
		.amdhsa_uses_dynamic_stack 0
		.amdhsa_system_sgpr_private_segment_wavefront_offset 0
		.amdhsa_system_sgpr_workgroup_id_x 1
		.amdhsa_system_sgpr_workgroup_id_y 0
		.amdhsa_system_sgpr_workgroup_id_z 0
		.amdhsa_system_sgpr_workgroup_info 0
		.amdhsa_system_vgpr_workitem_id 0
		.amdhsa_next_free_vgpr 59
		.amdhsa_next_free_sgpr 22
		.amdhsa_reserve_vcc 1
		.amdhsa_reserve_flat_scratch 0
		.amdhsa_float_round_mode_32 0
		.amdhsa_float_round_mode_16_64 0
		.amdhsa_float_denorm_mode_32 3
		.amdhsa_float_denorm_mode_16_64 3
		.amdhsa_dx10_clamp 1
		.amdhsa_ieee_mode 1
		.amdhsa_fp16_overflow 0
		.amdhsa_exception_fp_ieee_invalid_op 0
		.amdhsa_exception_fp_denorm_src 0
		.amdhsa_exception_fp_ieee_div_zero 0
		.amdhsa_exception_fp_ieee_overflow 0
		.amdhsa_exception_fp_ieee_underflow 0
		.amdhsa_exception_fp_ieee_inexact 0
		.amdhsa_exception_int_div_zero 0
	.end_amdhsa_kernel
	.text
.Lfunc_end0:
	.size	fft_rtc_back_len1500_factors_5_10_10_3_wgs_150_tpt_150_halfLds_sp_ip_CI_unitstride_sbrr_C2R_dirReg, .Lfunc_end0-fft_rtc_back_len1500_factors_5_10_10_3_wgs_150_tpt_150_halfLds_sp_ip_CI_unitstride_sbrr_C2R_dirReg
                                        ; -- End function
	.section	.AMDGPU.csdata,"",@progbits
; Kernel info:
; codeLenInByte = 7064
; NumSgprs: 26
; NumVgprs: 59
; ScratchSize: 0
; MemoryBound: 0
; FloatMode: 240
; IeeeMode: 1
; LDSByteSize: 0 bytes/workgroup (compile time only)
; SGPRBlocks: 3
; VGPRBlocks: 14
; NumSGPRsForWavesPerEU: 26
; NumVGPRsForWavesPerEU: 59
; Occupancy: 4
; WaveLimiterHint : 1
; COMPUTE_PGM_RSRC2:SCRATCH_EN: 0
; COMPUTE_PGM_RSRC2:USER_SGPR: 6
; COMPUTE_PGM_RSRC2:TRAP_HANDLER: 0
; COMPUTE_PGM_RSRC2:TGID_X_EN: 1
; COMPUTE_PGM_RSRC2:TGID_Y_EN: 0
; COMPUTE_PGM_RSRC2:TGID_Z_EN: 0
; COMPUTE_PGM_RSRC2:TIDIG_COMP_CNT: 0
	.type	__hip_cuid_abf100029a745270,@object ; @__hip_cuid_abf100029a745270
	.section	.bss,"aw",@nobits
	.globl	__hip_cuid_abf100029a745270
__hip_cuid_abf100029a745270:
	.byte	0                               ; 0x0
	.size	__hip_cuid_abf100029a745270, 1

	.ident	"AMD clang version 19.0.0git (https://github.com/RadeonOpenCompute/llvm-project roc-6.4.0 25133 c7fe45cf4b819c5991fe208aaa96edf142730f1d)"
	.section	".note.GNU-stack","",@progbits
	.addrsig
	.addrsig_sym __hip_cuid_abf100029a745270
	.amdgpu_metadata
---
amdhsa.kernels:
  - .args:
      - .actual_access:  read_only
        .address_space:  global
        .offset:         0
        .size:           8
        .value_kind:     global_buffer
      - .offset:         8
        .size:           8
        .value_kind:     by_value
      - .actual_access:  read_only
        .address_space:  global
        .offset:         16
        .size:           8
        .value_kind:     global_buffer
      - .actual_access:  read_only
        .address_space:  global
        .offset:         24
        .size:           8
        .value_kind:     global_buffer
      - .offset:         32
        .size:           8
        .value_kind:     by_value
      - .actual_access:  read_only
        .address_space:  global
        .offset:         40
        .size:           8
        .value_kind:     global_buffer
      - .actual_access:  read_only
        .address_space:  global
        .offset:         48
        .size:           8
        .value_kind:     global_buffer
      - .offset:         56
        .size:           4
        .value_kind:     by_value
      - .actual_access:  read_only
        .address_space:  global
        .offset:         64
        .size:           8
        .value_kind:     global_buffer
      - .actual_access:  read_only
        .address_space:  global
        .offset:         72
        .size:           8
        .value_kind:     global_buffer
      - .address_space:  global
        .offset:         80
        .size:           8
        .value_kind:     global_buffer
    .group_segment_fixed_size: 0
    .kernarg_segment_align: 8
    .kernarg_segment_size: 88
    .language:       OpenCL C
    .language_version:
      - 2
      - 0
    .max_flat_workgroup_size: 150
    .name:           fft_rtc_back_len1500_factors_5_10_10_3_wgs_150_tpt_150_halfLds_sp_ip_CI_unitstride_sbrr_C2R_dirReg
    .private_segment_fixed_size: 0
    .sgpr_count:     26
    .sgpr_spill_count: 0
    .symbol:         fft_rtc_back_len1500_factors_5_10_10_3_wgs_150_tpt_150_halfLds_sp_ip_CI_unitstride_sbrr_C2R_dirReg.kd
    .uniform_work_group_size: 1
    .uses_dynamic_stack: false
    .vgpr_count:     59
    .vgpr_spill_count: 0
    .wavefront_size: 64
amdhsa.target:   amdgcn-amd-amdhsa--gfx906
amdhsa.version:
  - 1
  - 2
...

	.end_amdgpu_metadata
